;; amdgpu-corpus repo=ROCm/rocFFT kind=compiled arch=gfx950 opt=O3
	.text
	.amdgcn_target "amdgcn-amd-amdhsa--gfx950"
	.amdhsa_code_object_version 6
	.protected	fft_rtc_back_len64_factors_8_2_4_wgs_64_tpt_4_halfLds_dim3_dp_ip_CI_sbcc_twdbase6_3step_dirReg ; -- Begin function fft_rtc_back_len64_factors_8_2_4_wgs_64_tpt_4_halfLds_dim3_dp_ip_CI_sbcc_twdbase6_3step_dirReg
	.globl	fft_rtc_back_len64_factors_8_2_4_wgs_64_tpt_4_halfLds_dim3_dp_ip_CI_sbcc_twdbase6_3step_dirReg
	.p2align	8
	.type	fft_rtc_back_len64_factors_8_2_4_wgs_64_tpt_4_halfLds_dim3_dp_ip_CI_sbcc_twdbase6_3step_dirReg,@function
fft_rtc_back_len64_factors_8_2_4_wgs_64_tpt_4_halfLds_dim3_dp_ip_CI_sbcc_twdbase6_3step_dirReg: ; @fft_rtc_back_len64_factors_8_2_4_wgs_64_tpt_4_halfLds_dim3_dp_ip_CI_sbcc_twdbase6_3step_dirReg
; %bb.0:
	s_load_dwordx2 s[8:9], s[0:1], 0x50
	s_load_dwordx2 s[12:13], s[0:1], 0x0
	s_load_dwordx4 s[4:7], s[0:1], 0x10
	s_movk_i32 s3, 0xc0
	v_cmp_gt_u32_e32 vcc, s3, v0
	s_and_saveexec_b64 s[10:11], vcc
	s_cbranch_execz .LBB0_3
; %bb.1:
	s_load_dwordx2 s[0:1], s[0:1], 0x8
	v_lshlrev_b32_e32 v6, 4, v0
	v_mov_b32_e32 v7, 0
	v_add_u32_e32 v1, 0, v6
	v_or_b32_e32 v2, 0xffffffc0, v0
	v_mov_b32_e32 v3, -1
	s_waitcnt lgkmcnt(0)
	v_lshl_add_u64 v[4:5], s[0:1], 0, v[6:7]
	v_add_u32_e32 v1, 0x2000, v1
	s_mov_b64 s[0:1], 0
	s_mov_b64 s[14:15], 0x400
	;; [unrolled: 1-line block ×3, first 2 shown]
.LBB0_2:                                ; =>This Inner Loop Header: Depth=1
	global_load_dwordx4 v[6:9], v[4:5], off
	v_lshl_add_u64 v[2:3], v[2:3], 0, 64
	v_cmp_lt_u64_e32 vcc, s[16:17], v[2:3]
	v_lshl_add_u64 v[4:5], v[4:5], 0, s[14:15]
	s_or_b64 s[0:1], vcc, s[0:1]
	s_waitcnt vmcnt(0)
	ds_write2_b64 v1, v[6:7], v[8:9] offset1:1
	v_add_u32_e32 v1, 0x400, v1
	s_andn2_b64 exec, exec, s[0:1]
	s_cbranch_execnz .LBB0_2
.LBB0_3:
	s_or_b64 exec, exec, s[10:11]
	s_waitcnt lgkmcnt(0)
	s_load_dwordx2 s[14:15], s[4:5], 0x8
	s_mov_b32 s3, 0
	s_mov_b64 s[16:17], 0
	s_waitcnt lgkmcnt(0)
	s_add_u32 s0, s14, -1
	s_addc_u32 s1, s15, -1
	s_lshr_b64 s[0:1], s[0:1], 4
	s_add_u32 s0, s0, 1
	s_addc_u32 s1, s1, 0
	v_mov_b64_e32 v[2:3], s[0:1]
	v_cmp_lt_u64_e32 vcc, s[2:3], v[2:3]
	s_cbranch_vccnz .LBB0_5
; %bb.4:
	v_cvt_f32_u32_e32 v1, s0
	s_sub_i32 s10, 0, s0
	v_rcp_iflag_f32_e32 v1, v1
	s_nop 0
	v_mul_f32_e32 v1, 0x4f7ffffe, v1
	v_cvt_u32_f32_e32 v1, v1
	s_nop 0
	v_readfirstlane_b32 s11, v1
	s_mul_i32 s10, s10, s11
	s_mul_hi_u32 s10, s11, s10
	s_add_i32 s11, s11, s10
	s_mul_hi_u32 s10, s2, s11
	s_mul_i32 s16, s10, s0
	s_sub_i32 s16, s2, s16
	s_add_i32 s11, s10, 1
	s_sub_i32 s17, s16, s0
	s_cmp_ge_u32 s16, s0
	s_cselect_b32 s10, s11, s10
	s_cselect_b32 s16, s17, s16
	s_add_i32 s11, s10, 1
	s_cmp_ge_u32 s16, s0
	s_cselect_b32 s16, s11, s10
	s_mov_b32 s17, s3
.LBB0_5:
	s_load_dwordx2 s[20:21], s[4:5], 0x10
	s_load_dwordx2 s[10:11], s[6:7], 0x8
	s_mov_b64 s[18:19], s[16:17]
	s_waitcnt lgkmcnt(0)
	v_mov_b64_e32 v[2:3], s[20:21]
	v_cmp_lt_u64_e32 vcc, s[16:17], v[2:3]
	s_cbranch_vccnz .LBB0_7
; %bb.6:
	v_cvt_f32_u32_e32 v1, s20
	s_sub_i32 s4, 0, s20
	v_rcp_iflag_f32_e32 v1, v1
	s_nop 0
	v_mul_f32_e32 v1, 0x4f7ffffe, v1
	v_cvt_u32_f32_e32 v1, v1
	s_nop 0
	v_readfirstlane_b32 s5, v1
	s_mul_i32 s4, s4, s5
	s_mul_hi_u32 s4, s5, s4
	s_add_i32 s5, s5, s4
	s_mul_hi_u32 s4, s16, s5
	s_mul_i32 s4, s4, s20
	s_sub_i32 s4, s16, s4
	s_sub_i32 s5, s4, s20
	s_cmp_ge_u32 s4, s20
	s_cselect_b32 s4, s5, s4
	s_sub_i32 s5, s4, s20
	s_cmp_ge_u32 s4, s20
	s_cselect_b32 s18, s5, s4
.LBB0_7:
	s_mul_i32 s4, s20, s1
	s_mul_hi_u32 s5, s20, s0
	s_add_i32 s4, s5, s4
	s_mul_i32 s5, s21, s0
	s_add_i32 s25, s4, s5
	s_mul_i32 s24, s20, s0
	s_load_dwordx2 s[4:5], s[6:7], 0x0
	s_load_dwordx2 s[20:21], s[6:7], 0x10
	v_mov_b64_e32 v[2:3], s[24:25]
	v_cmp_lt_u64_e32 vcc, s[2:3], v[2:3]
	s_mov_b64 s[22:23], 0
	s_cbranch_vccnz .LBB0_9
; %bb.8:
	v_cvt_f32_u32_e32 v1, s24
	s_sub_i32 s3, 0, s24
	v_rcp_iflag_f32_e32 v1, v1
	s_nop 0
	v_mul_f32_e32 v1, 0x4f7ffffe, v1
	v_cvt_u32_f32_e32 v1, v1
	s_nop 0
	v_readfirstlane_b32 s17, v1
	s_mul_i32 s3, s3, s17
	s_mul_hi_u32 s3, s17, s3
	s_add_i32 s17, s17, s3
	s_mul_hi_u32 s3, s2, s17
	s_mul_i32 s19, s3, s24
	s_sub_i32 s19, s2, s19
	s_add_i32 s17, s3, 1
	s_sub_i32 s22, s19, s24
	s_cmp_ge_u32 s19, s24
	s_cselect_b32 s3, s17, s3
	s_cselect_b32 s19, s22, s19
	s_add_i32 s17, s3, 1
	s_cmp_ge_u32 s19, s24
	s_cselect_b32 s22, s17, s3
.LBB0_9:
	s_mul_i32 s1, s16, s1
	s_mul_hi_u32 s3, s16, s0
	s_add_i32 s3, s3, s1
	s_mul_i32 s0, s16, s0
	s_sub_u32 s0, s2, s0
	s_subb_u32 s1, 0, s3
	v_mov_b32_e32 v1, s0
	v_alignbit_b32 v1, s1, v1, 28
	s_lshl_b64 s[16:17], s[0:1], 4
	v_readfirstlane_b32 s0, v1
	s_mul_i32 s0, s10, s0
	s_mul_hi_u32 s1, s10, s16
	s_add_i32 s0, s1, s0
	s_mul_i32 s1, s11, s16
	s_add_i32 s2, s0, s1
	s_load_dwordx2 s[0:1], s[6:7], 0x18
	s_waitcnt lgkmcnt(0)
	s_mul_i32 s19, s21, s18
	s_mul_hi_u32 s21, s20, s18
	s_mul_i32 s3, s10, s16
	s_add_i32 s21, s21, s19
	s_mul_i32 s6, s20, s18
	s_add_u32 s3, s6, s3
	s_addc_u32 s6, s21, s2
	s_mul_i32 s1, s1, s22
	s_mul_hi_u32 s2, s0, s22
	s_add_i32 s1, s2, s1
	s_mul_i32 s0, s0, s22
	s_add_u32 s2, s0, s3
	s_addc_u32 s3, s1, s6
	s_add_u32 s6, s16, 16
	s_addc_u32 s7, s17, 0
	v_mov_b64_e32 v[2:3], s[14:15]
	v_and_b32_e32 v93, 15, v0
	v_cmp_gt_u64_e32 vcc, s[6:7], v[2:3]
	v_or_b32_e32 v86, s16, v93
	v_mov_b32_e32 v87, s17
	v_cmp_le_u64_e64 s[0:1], s[6:7], v[2:3]
	v_lshrrev_b32_e32 v92, 4, v0
	s_cbranch_vccz .LBB0_15
; %bb.10:
	v_cmp_le_u64_e32 vcc, s[14:15], v[86:87]
                                        ; implicit-def: $vgpr96
                                        ; implicit-def: $vgpr94
                                        ; implicit-def: $vgpr95
                                        ; implicit-def: $vgpr1
                                        ; implicit-def: $vgpr67
                                        ; implicit-def: $vgpr66
                                        ; implicit-def: $vgpr68
	s_and_saveexec_b64 s[6:7], vcc
	s_xor_b64 s[6:7], exec, s[6:7]
; %bb.11:
	v_or_b32_e32 v96, 4, v92
	v_or_b32_e32 v94, 8, v92
	;; [unrolled: 1-line block ×7, first 2 shown]
; %bb.12:
	s_or_saveexec_b64 s[6:7], s[6:7]
                                        ; implicit-def: $vgpr2_vgpr3
                                        ; implicit-def: $vgpr34_vgpr35
                                        ; implicit-def: $vgpr14_vgpr15
                                        ; implicit-def: $vgpr58_vgpr59
                                        ; implicit-def: $vgpr62_vgpr63
                                        ; implicit-def: $vgpr54_vgpr55
                                        ; implicit-def: $vgpr38_vgpr39
                                        ; implicit-def: $vgpr42_vgpr43
                                        ; implicit-def: $vgpr50_vgpr51
                                        ; implicit-def: $vgpr30_vgpr31
                                        ; implicit-def: $vgpr46_vgpr47
                                        ; implicit-def: $vgpr26_vgpr27
                                        ; implicit-def: $vgpr10_vgpr11
                                        ; implicit-def: $vgpr18_vgpr19
                                        ; implicit-def: $vgpr22_vgpr23
                                        ; implicit-def: $vgpr6_vgpr7
	s_xor_b64 exec, exec, s[6:7]
	s_cbranch_execz .LBB0_14
; %bb.13:
	v_mad_u64_u32 v[2:3], s[16:17], s10, v93, 0
	v_mov_b32_e32 v4, v3
	v_mad_u64_u32 v[4:5], s[16:17], s11, v93, v[4:5]
	v_mov_b32_e32 v3, v4
	;; [unrolled: 2-line block ×3, first 2 shown]
	v_mad_u64_u32 v[6:7], s[16:17], s5, v92, v[6:7]
	s_lshl_b64 s[16:17], s[2:3], 4
	s_add_u32 s16, s8, s16
	s_addc_u32 s17, s9, s17
	v_or_b32_e32 v94, 8, v92
	v_mov_b32_e32 v5, v6
	v_lshl_add_u64 v[58:59], v[2:3], 4, s[16:17]
	v_mad_u64_u32 v[2:3], s[16:17], s4, v94, 0
	v_lshl_add_u64 v[10:11], v[4:5], 4, v[58:59]
	v_mov_b32_e32 v4, v3
	v_mad_u64_u32 v[4:5], s[16:17], s5, v94, v[4:5]
	v_mov_b32_e32 v3, v4
	v_or_b32_e32 v1, 16, v92
	v_lshl_add_u64 v[12:13], v[2:3], 4, v[58:59]
	global_load_dwordx4 v[2:5], v[10:11], off
	global_load_dwordx4 v[6:9], v[12:13], off
	v_mad_u64_u32 v[10:11], s[16:17], s4, v1, 0
	v_mov_b32_e32 v12, v11
	v_mad_u64_u32 v[12:13], s[16:17], s5, v1, v[12:13]
	v_or_b32_e32 v66, 24, v92
	v_mov_b32_e32 v11, v12
	v_mad_u64_u32 v[12:13], s[16:17], s4, v66, 0
	v_mov_b32_e32 v14, v13
	v_mad_u64_u32 v[14:15], s[16:17], s5, v66, v[14:15]
	v_mov_b32_e32 v13, v14
	v_lshl_add_u64 v[10:11], v[10:11], 4, v[58:59]
	v_lshl_add_u64 v[12:13], v[12:13], 4, v[58:59]
	global_load_dwordx4 v[22:25], v[10:11], off
	global_load_dwordx4 v[18:21], v[12:13], off
	v_or_b32_e32 v13, 32, v92
	v_mad_u64_u32 v[10:11], s[16:17], s4, v13, 0
	v_mov_b32_e32 v12, v11
	v_mad_u64_u32 v[12:13], s[16:17], s5, v13, v[12:13]
	v_mov_b32_e32 v11, v12
	v_or_b32_e32 v13, 40, v92
	v_lshl_add_u64 v[14:15], v[10:11], 4, v[58:59]
	v_mad_u64_u32 v[10:11], s[16:17], s4, v13, 0
	v_mov_b32_e32 v12, v11
	v_mad_u64_u32 v[12:13], s[16:17], s5, v13, v[12:13]
	v_mov_b32_e32 v11, v12
	v_lshl_add_u64 v[16:17], v[10:11], 4, v[58:59]
	global_load_dwordx4 v[10:13], v[14:15], off
	global_load_dwordx4 v[26:29], v[16:17], off
	v_or_b32_e32 v17, 48, v92
	v_mad_u64_u32 v[14:15], s[16:17], s4, v17, 0
	v_mov_b32_e32 v16, v15
	v_mad_u64_u32 v[16:17], s[16:17], s5, v17, v[16:17]
	v_or_b32_e32 v31, 56, v92
	v_mov_b32_e32 v15, v16
	v_mad_u64_u32 v[16:17], s[16:17], s4, v31, 0
	v_mov_b32_e32 v30, v17
	v_mad_u64_u32 v[30:31], s[16:17], s5, v31, v[30:31]
	v_lshl_add_u64 v[14:15], v[14:15], 4, v[58:59]
	v_mov_b32_e32 v17, v30
	v_or_b32_e32 v96, 4, v92
	v_lshl_add_u64 v[16:17], v[16:17], 4, v[58:59]
	global_load_dwordx4 v[46:49], v[14:15], off
	global_load_dwordx4 v[34:37], v[16:17], off
	v_mad_u64_u32 v[14:15], s[16:17], s4, v96, 0
	v_mov_b32_e32 v16, v15
	v_mad_u64_u32 v[16:17], s[16:17], s5, v96, v[16:17]
	v_mov_b32_e32 v15, v16
	v_or_b32_e32 v95, 12, v92
	v_lshl_add_u64 v[38:39], v[14:15], 4, v[58:59]
	v_mad_u64_u32 v[14:15], s[16:17], s4, v95, 0
	v_mov_b32_e32 v16, v15
	v_mad_u64_u32 v[16:17], s[16:17], s5, v95, v[16:17]
	v_mov_b32_e32 v15, v16
	v_or_b32_e32 v67, 20, v92
	v_lshl_add_u64 v[40:41], v[14:15], 4, v[58:59]
	global_load_dwordx4 v[14:17], v[38:39], off
	global_load_dwordx4 v[30:33], v[40:41], off
	v_mad_u64_u32 v[38:39], s[16:17], s4, v67, 0
	v_mov_b32_e32 v40, v39
	v_mad_u64_u32 v[40:41], s[16:17], s5, v67, v[40:41]
	v_or_b32_e32 v68, 28, v92
	v_mov_b32_e32 v39, v40
	v_mad_u64_u32 v[40:41], s[16:17], s4, v68, 0
	v_mov_b32_e32 v42, v41
	v_mad_u64_u32 v[42:43], s[16:17], s5, v68, v[42:43]
	v_mov_b32_e32 v41, v42
	v_lshl_add_u64 v[38:39], v[38:39], 4, v[58:59]
	v_lshl_add_u64 v[40:41], v[40:41], 4, v[58:59]
	global_load_dwordx4 v[50:53], v[38:39], off
	global_load_dwordx4 v[42:45], v[40:41], off
	v_or_b32_e32 v41, 36, v92
	v_mad_u64_u32 v[38:39], s[16:17], s4, v41, 0
	v_mov_b32_e32 v40, v39
	v_mad_u64_u32 v[40:41], s[16:17], s5, v41, v[40:41]
	v_mov_b32_e32 v39, v40
	v_or_b32_e32 v41, 44, v92
	v_lshl_add_u64 v[60:61], v[38:39], 4, v[58:59]
	v_mad_u64_u32 v[38:39], s[16:17], s4, v41, 0
	v_mov_b32_e32 v40, v39
	v_mad_u64_u32 v[40:41], s[16:17], s5, v41, v[40:41]
	v_mov_b32_e32 v39, v40
	v_lshl_add_u64 v[62:63], v[38:39], 4, v[58:59]
	global_load_dwordx4 v[38:41], v[60:61], off
	global_load_dwordx4 v[54:57], v[62:63], off
	v_or_b32_e32 v63, 52, v92
	v_mad_u64_u32 v[60:61], s[16:17], s4, v63, 0
	v_mov_b32_e32 v62, v61
	v_mad_u64_u32 v[62:63], s[16:17], s5, v63, v[62:63]
	v_mov_b32_e32 v61, v62
	v_or_b32_e32 v63, 60, v92
	v_lshl_add_u64 v[70:71], v[60:61], 4, v[58:59]
	v_mad_u64_u32 v[60:61], s[16:17], s4, v63, 0
	v_mov_b32_e32 v62, v61
	v_mad_u64_u32 v[62:63], s[16:17], s5, v63, v[62:63]
	v_mov_b32_e32 v61, v62
	v_lshl_add_u64 v[72:73], v[60:61], 4, v[58:59]
	global_load_dwordx4 v[62:65], v[70:71], off
	global_load_dwordx4 v[58:61], v[72:73], off
.LBB0_14:
	s_or_b64 exec, exec, s[6:7]
	v_or_b32_e32 v97, 48, v92
	s_cbranch_execz .LBB0_16
	s_branch .LBB0_17
.LBB0_15:
                                        ; implicit-def: $vgpr2_vgpr3
                                        ; implicit-def: $vgpr34_vgpr35
                                        ; implicit-def: $vgpr14_vgpr15
                                        ; implicit-def: $vgpr58_vgpr59
                                        ; implicit-def: $vgpr62_vgpr63
                                        ; implicit-def: $vgpr54_vgpr55
                                        ; implicit-def: $vgpr38_vgpr39
                                        ; implicit-def: $vgpr42_vgpr43
                                        ; implicit-def: $vgpr50_vgpr51
                                        ; implicit-def: $vgpr30_vgpr31
                                        ; implicit-def: $vgpr46_vgpr47
                                        ; implicit-def: $vgpr26_vgpr27
                                        ; implicit-def: $vgpr10_vgpr11
                                        ; implicit-def: $vgpr96
                                        ; implicit-def: $vgpr94
                                        ; implicit-def: $vgpr95
                                        ; implicit-def: $vgpr1
                                        ; implicit-def: $vgpr67
                                        ; implicit-def: $vgpr66
                                        ; implicit-def: $vgpr68
                                        ; implicit-def: $vgpr18_vgpr19
                                        ; implicit-def: $vgpr22_vgpr23
                                        ; implicit-def: $vgpr6_vgpr7
	v_or_b32_e32 v97, 48, v92
.LBB0_16:
	s_waitcnt vmcnt(15)
	v_mad_u64_u32 v[2:3], s[6:7], s10, v93, 0
	v_mov_b32_e32 v4, v3
	v_mad_u64_u32 v[4:5], s[6:7], s11, v93, v[4:5]
	v_mov_b32_e32 v3, v4
	v_mad_u64_u32 v[4:5], s[6:7], s4, v92, 0
	s_waitcnt vmcnt(14)
	v_mov_b32_e32 v6, v5
	v_mad_u64_u32 v[6:7], s[6:7], s5, v92, v[6:7]
	s_lshl_b64 s[6:7], s[2:3], 4
	s_add_u32 s6, s8, s6
	s_addc_u32 s7, s9, s7
	v_or_b32_e32 v94, 8, v92
	v_mov_b32_e32 v5, v6
	s_waitcnt vmcnt(0)
	v_lshl_add_u64 v[58:59], v[2:3], 4, s[6:7]
	v_mad_u64_u32 v[2:3], s[6:7], s4, v94, 0
	v_lshl_add_u64 v[10:11], v[4:5], 4, v[58:59]
	v_mov_b32_e32 v4, v3
	v_mad_u64_u32 v[4:5], s[6:7], s5, v94, v[4:5]
	v_mov_b32_e32 v3, v4
	v_or_b32_e32 v1, 16, v92
	v_lshl_add_u64 v[12:13], v[2:3], 4, v[58:59]
	global_load_dwordx4 v[2:5], v[10:11], off
	global_load_dwordx4 v[6:9], v[12:13], off
	v_mad_u64_u32 v[10:11], s[6:7], s4, v1, 0
	v_mov_b32_e32 v12, v11
	v_mad_u64_u32 v[12:13], s[6:7], s5, v1, v[12:13]
	v_or_b32_e32 v66, 24, v92
	v_mov_b32_e32 v11, v12
	v_mad_u64_u32 v[12:13], s[6:7], s4, v66, 0
	v_mov_b32_e32 v14, v13
	v_mad_u64_u32 v[14:15], s[6:7], s5, v66, v[14:15]
	v_mov_b32_e32 v13, v14
	v_lshl_add_u64 v[10:11], v[10:11], 4, v[58:59]
	v_lshl_add_u64 v[12:13], v[12:13], 4, v[58:59]
	global_load_dwordx4 v[22:25], v[10:11], off
	global_load_dwordx4 v[18:21], v[12:13], off
	v_or_b32_e32 v13, 32, v92
	v_mad_u64_u32 v[10:11], s[6:7], s4, v13, 0
	v_mov_b32_e32 v12, v11
	v_mad_u64_u32 v[12:13], s[6:7], s5, v13, v[12:13]
	v_mov_b32_e32 v11, v12
	v_or_b32_e32 v13, 40, v92
	v_lshl_add_u64 v[14:15], v[10:11], 4, v[58:59]
	v_mad_u64_u32 v[10:11], s[6:7], s4, v13, 0
	v_mov_b32_e32 v12, v11
	v_mad_u64_u32 v[12:13], s[6:7], s5, v13, v[12:13]
	v_mov_b32_e32 v11, v12
	v_lshl_add_u64 v[16:17], v[10:11], 4, v[58:59]
	global_load_dwordx4 v[10:13], v[14:15], off
	global_load_dwordx4 v[26:29], v[16:17], off
	v_mad_u64_u32 v[14:15], s[6:7], s4, v97, 0
	v_mov_b32_e32 v16, v15
	v_mad_u64_u32 v[16:17], s[6:7], s5, v97, v[16:17]
	v_or_b32_e32 v31, 56, v92
	v_mov_b32_e32 v15, v16
	v_mad_u64_u32 v[16:17], s[6:7], s4, v31, 0
	v_mov_b32_e32 v30, v17
	v_mad_u64_u32 v[30:31], s[6:7], s5, v31, v[30:31]
	v_lshl_add_u64 v[14:15], v[14:15], 4, v[58:59]
	v_mov_b32_e32 v17, v30
	v_or_b32_e32 v96, 4, v92
	v_lshl_add_u64 v[16:17], v[16:17], 4, v[58:59]
	global_load_dwordx4 v[46:49], v[14:15], off
	global_load_dwordx4 v[34:37], v[16:17], off
	v_mad_u64_u32 v[14:15], s[6:7], s4, v96, 0
	v_mov_b32_e32 v16, v15
	v_mad_u64_u32 v[16:17], s[6:7], s5, v96, v[16:17]
	v_mov_b32_e32 v15, v16
	v_or_b32_e32 v95, 12, v92
	v_lshl_add_u64 v[38:39], v[14:15], 4, v[58:59]
	v_mad_u64_u32 v[14:15], s[6:7], s4, v95, 0
	v_mov_b32_e32 v16, v15
	v_mad_u64_u32 v[16:17], s[6:7], s5, v95, v[16:17]
	v_mov_b32_e32 v15, v16
	v_or_b32_e32 v67, 20, v92
	v_lshl_add_u64 v[40:41], v[14:15], 4, v[58:59]
	global_load_dwordx4 v[14:17], v[38:39], off
	global_load_dwordx4 v[30:33], v[40:41], off
	v_mad_u64_u32 v[38:39], s[6:7], s4, v67, 0
	v_mov_b32_e32 v40, v39
	v_mad_u64_u32 v[40:41], s[6:7], s5, v67, v[40:41]
	v_or_b32_e32 v68, 28, v92
	v_mov_b32_e32 v39, v40
	v_mad_u64_u32 v[40:41], s[6:7], s4, v68, 0
	v_mov_b32_e32 v42, v41
	v_mad_u64_u32 v[42:43], s[6:7], s5, v68, v[42:43]
	v_mov_b32_e32 v41, v42
	v_lshl_add_u64 v[38:39], v[38:39], 4, v[58:59]
	v_lshl_add_u64 v[40:41], v[40:41], 4, v[58:59]
	global_load_dwordx4 v[50:53], v[38:39], off
	global_load_dwordx4 v[42:45], v[40:41], off
	v_or_b32_e32 v41, 36, v92
	v_mad_u64_u32 v[38:39], s[6:7], s4, v41, 0
	v_mov_b32_e32 v40, v39
	v_mad_u64_u32 v[40:41], s[6:7], s5, v41, v[40:41]
	v_mov_b32_e32 v39, v40
	v_or_b32_e32 v41, 44, v92
	v_lshl_add_u64 v[60:61], v[38:39], 4, v[58:59]
	v_mad_u64_u32 v[38:39], s[6:7], s4, v41, 0
	v_mov_b32_e32 v40, v39
	v_mad_u64_u32 v[40:41], s[6:7], s5, v41, v[40:41]
	v_mov_b32_e32 v39, v40
	v_lshl_add_u64 v[62:63], v[38:39], 4, v[58:59]
	global_load_dwordx4 v[38:41], v[60:61], off
	global_load_dwordx4 v[54:57], v[62:63], off
	v_or_b32_e32 v63, 52, v92
	v_mad_u64_u32 v[60:61], s[6:7], s4, v63, 0
	v_mov_b32_e32 v62, v61
	v_mad_u64_u32 v[62:63], s[6:7], s5, v63, v[62:63]
	v_mov_b32_e32 v61, v62
	v_or_b32_e32 v63, 60, v92
	v_lshl_add_u64 v[70:71], v[60:61], 4, v[58:59]
	v_mad_u64_u32 v[60:61], s[6:7], s4, v63, 0
	v_mov_b32_e32 v62, v61
	v_mad_u64_u32 v[62:63], s[6:7], s5, v63, v[62:63]
	v_mov_b32_e32 v61, v62
	v_lshl_add_u64 v[72:73], v[60:61], 4, v[58:59]
	global_load_dwordx4 v[62:65], v[70:71], off
	global_load_dwordx4 v[58:61], v[72:73], off
.LBB0_17:
	s_waitcnt vmcnt(9)
	v_add_f64 v[46:47], v[22:23], -v[46:47]
	v_add_f64 v[48:49], v[24:25], -v[48:49]
	;; [unrolled: 1-line block ×3, first 2 shown]
	s_waitcnt vmcnt(8)
	v_add_f64 v[34:35], v[18:19], -v[34:35]
	v_add_f64 v[36:37], v[20:21], -v[36:37]
	;; [unrolled: 1-line block ×3, first 2 shown]
	v_fma_f64 v[22:23], v[22:23], 2.0, -v[46:47]
	v_fma_f64 v[24:25], v[24:25], 2.0, -v[48:49]
	v_add_f64 v[28:29], v[8:9], -v[28:29]
	v_fma_f64 v[6:7], v[6:7], 2.0, -v[26:27]
	v_fma_f64 v[18:19], v[18:19], 2.0, -v[34:35]
	;; [unrolled: 1-line block ×4, first 2 shown]
	v_add_f64 v[48:49], v[48:49], v[10:11]
	v_add_f64 v[36:37], v[26:27], v[36:37]
	s_mov_b32 s6, 0x667f3bcd
	v_add_f64 v[22:23], v[2:3], -v[22:23]
	v_fma_f64 v[10:11], v[10:11], 2.0, -v[48:49]
	v_add_f64 v[70:71], v[6:7], -v[18:19]
	v_add_f64 v[34:35], v[28:29], -v[34:35]
	v_fma_f64 v[18:19], v[26:27], 2.0, -v[36:37]
	s_mov_b32 s7, 0xbfe6a09e
	v_fma_f64 v[8:9], v[8:9], 2.0, -v[28:29]
	v_fma_f64 v[2:3], v[2:3], 2.0, -v[22:23]
	v_fma_f64 v[6:7], v[6:7], 2.0, -v[70:71]
	v_fma_f64 v[26:27], v[28:29], 2.0, -v[34:35]
	s_mov_b32 s17, 0x3fe6a09e
	s_mov_b32 s16, s6
	v_fma_f64 v[28:29], s[6:7], v[18:19], v[10:11]
	v_add_f64 v[6:7], v[2:3], -v[6:7]
	v_fmac_f64_e32 v[28:29], s[16:17], v[26:27]
	v_lshlrev_b32_e32 v69, 10, v92
	v_lshlrev_b32_e32 v88, 3, v93
	v_fma_f64 v[2:3], v[2:3], 2.0, -v[6:7]
	v_fma_f64 v[10:11], v[10:11], 2.0, -v[28:29]
	v_add3_u32 v69, 0, v69, v88
	ds_write2_b64 v69, v[2:3], v[10:11] offset1:16
	v_add_f64 v[2:3], v[4:5], -v[12:13]
	v_fma_f64 v[4:5], v[4:5], 2.0, -v[2:3]
	v_add_f64 v[74:75], v[2:3], -v[46:47]
	v_add_f64 v[72:73], v[4:5], -v[24:25]
	v_fma_f64 v[2:3], v[2:3], 2.0, -v[74:75]
	v_add_f64 v[10:11], v[8:9], -v[20:21]
	v_fma_f64 v[4:5], v[4:5], 2.0, -v[72:73]
	v_fma_f64 v[8:9], v[8:9], 2.0, -v[10:11]
	v_fma_f64 v[80:81], s[6:7], v[26:27], v[2:3]
	v_add_f64 v[76:77], v[4:5], -v[8:9]
	v_fmac_f64_e32 v[80:81], s[6:7], v[18:19]
	v_fma_f64 v[8:9], s[16:17], v[36:37], v[48:49]
	v_fma_f64 v[82:83], v[2:3], 2.0, -v[80:81]
	v_add_f64 v[2:3], v[10:11], v[22:23]
	v_fmac_f64_e32 v[8:9], s[16:17], v[34:35]
	v_fma_f64 v[78:79], v[4:5], 2.0, -v[76:77]
	v_fma_f64 v[4:5], v[22:23], 2.0, -v[2:3]
	v_fma_f64 v[10:11], v[48:49], 2.0, -v[8:9]
	ds_write2_b64 v69, v[4:5], v[10:11] offset0:32 offset1:48
	s_waitcnt vmcnt(3)
	v_add_f64 v[4:5], v[14:15], -v[38:39]
	s_waitcnt vmcnt(1)
	v_add_f64 v[38:39], v[50:51], -v[62:63]
	v_add_f64 v[10:11], v[52:53], -v[64:65]
	;; [unrolled: 1-line block ×3, first 2 shown]
	s_waitcnt vmcnt(0)
	v_add_f64 v[24:25], v[42:43], -v[58:59]
	v_add_f64 v[26:27], v[44:45], -v[60:61]
	v_fma_f64 v[12:13], v[50:51], 2.0, -v[38:39]
	v_fma_f64 v[50:51], v[52:53], 2.0, -v[10:11]
	v_add_f64 v[20:21], v[32:33], -v[56:57]
	v_fma_f64 v[22:23], v[30:31], 2.0, -v[18:19]
	v_fma_f64 v[30:31], v[42:43], 2.0, -v[24:25]
	v_fma_f64 v[14:15], v[14:15], 2.0, -v[4:5]
	v_add_f64 v[10:11], v[10:11], v[4:5]
	v_add_f64 v[56:57], v[18:19], v[26:27]
	v_add_f64 v[12:13], v[14:15], -v[12:13]
	v_fma_f64 v[4:5], v[4:5], 2.0, -v[10:11]
	v_add_f64 v[42:43], v[22:23], -v[30:31]
	v_add_f64 v[58:59], v[20:21], -v[24:25]
	v_fma_f64 v[60:61], v[18:19], 2.0, -v[56:57]
	ds_write2_b64 v69, v[2:3], v[8:9] offset0:96 offset1:112
	v_fma_f64 v[2:3], s[16:17], v[56:57], v[10:11]
	v_fma_f64 v[52:53], v[32:33], 2.0, -v[20:21]
	v_fma_f64 v[32:33], v[44:45], 2.0, -v[26:27]
	;; [unrolled: 1-line block ×5, first 2 shown]
	ds_write2_b64 v69, v[6:7], v[28:29] offset0:64 offset1:80
	v_fma_f64 v[6:7], s[6:7], v[60:61], v[4:5]
	v_fmac_f64_e32 v[2:3], s[16:17], v[58:59]
	v_add_f64 v[54:55], v[52:53], -v[32:33]
	v_add_f64 v[18:19], v[14:15], -v[22:23]
	v_fmac_f64_e32 v[6:7], s[16:17], v[62:63]
	v_fma_f64 v[8:9], v[10:11], 2.0, -v[2:3]
	v_lshlrev_b32_e32 v10, 10, v96
	v_add_f64 v[40:41], v[16:17], -v[40:41]
	v_fma_f64 v[14:15], v[14:15], 2.0, -v[18:19]
	v_fma_f64 v[4:5], v[4:5], 2.0, -v[6:7]
	v_add_f64 v[20:21], v[54:55], v[12:13]
	v_add3_u32 v49, 0, v10, v88
	v_fma_f64 v[16:17], v[16:17], 2.0, -v[40:41]
	v_add_f64 v[38:39], v[40:41], -v[38:39]
	v_fma_f64 v[12:13], v[12:13], 2.0, -v[20:21]
	ds_write2_b64 v49, v[14:15], v[4:5] offset1:16
	ds_write2_b64 v49, v[12:13], v[8:9] offset0:32 offset1:48
	ds_write2_b64 v49, v[18:19], v[6:7] offset0:64 offset1:80
	;; [unrolled: 1-line block ×3, first 2 shown]
	v_lshlrev_b32_e32 v2, 7, v94
	v_lshlrev_b32_e32 v6, 7, v67
	v_fma_f64 v[34:35], s[16:17], v[34:35], v[74:75]
	v_fma_f64 v[40:41], v[40:41], 2.0, -v[38:39]
	v_add_f64 v[50:51], v[16:17], -v[50:51]
	s_movk_i32 s18, 0xfc80
	v_add3_u32 v45, 0, v2, v88
	v_lshlrev_b32_e32 v2, 7, v95
	v_add3_u32 v89, 0, v6, v88
	v_lshlrev_b32_e32 v6, 7, v66
	v_fmac_f64_e32 v[34:35], s[6:7], v[36:37]
	v_add_f64 v[36:37], v[72:73], -v[70:71]
	v_fma_f64 v[52:53], v[52:53], 2.0, -v[54:55]
	v_fma_f64 v[54:55], s[6:7], v[62:63], v[40:41]
	v_fma_f64 v[58:59], s[16:17], v[58:59], v[38:39]
	v_fma_f64 v[16:17], v[16:17], 2.0, -v[50:51]
	v_mad_i32_i24 v44, v96, s18, v49
	v_add3_u32 v47, 0, v2, v88
	v_lshlrev_b32_e32 v2, 7, v1
	v_add3_u32 v90, 0, v6, v88
	v_lshlrev_b32_e32 v6, 7, v68
	v_fma_f64 v[64:65], v[72:73], 2.0, -v[36:37]
	v_fma_f64 v[70:71], v[74:75], 2.0, -v[34:35]
	v_fmac_f64_e32 v[54:55], s[6:7], v[60:61]
	v_fmac_f64_e32 v[58:59], s[6:7], v[56:57]
	v_add_f64 v[52:53], v[16:17], -v[52:53]
	v_add_f64 v[42:43], v[50:51], -v[42:43]
	s_waitcnt lgkmcnt(0)
	; wave barrier
	s_waitcnt lgkmcnt(0)
	v_mad_i32_i24 v46, v92, s18, v69
	v_add3_u32 v48, 0, v2, v88
	ds_read_b64 v[14:15], v44
	ds_read_b64 v[12:13], v45
	;; [unrolled: 1-line block ×4, first 2 shown]
	v_add3_u32 v91, 0, v6, v88
	ds_read_b64 v[10:11], v89
	ds_read_b64 v[8:9], v90
	;; [unrolled: 1-line block ×3, first 2 shown]
	ds_read_b64 v[84:85], v46 offset:7680
	ds_read2st64_b64 v[18:21], v46 offset0:13 offset1:14
	ds_read2st64_b64 v[22:25], v46 offset1:8
	ds_read2st64_b64 v[26:29], v46 offset0:9 offset1:10
	ds_read2st64_b64 v[30:33], v46 offset0:11 offset1:12
	s_waitcnt lgkmcnt(0)
	; wave barrier
	s_waitcnt lgkmcnt(0)
	ds_write2_b64 v69, v[78:79], v[82:83] offset1:16
	ds_write2_b64 v69, v[64:65], v[70:71] offset0:32 offset1:48
	ds_write2_b64 v69, v[76:77], v[80:81] offset0:64 offset1:80
	v_fma_f64 v[16:17], v[16:17], 2.0, -v[52:53]
	v_fma_f64 v[40:41], v[40:41], 2.0, -v[54:55]
	;; [unrolled: 1-line block ×4, first 2 shown]
	ds_write2_b64 v69, v[36:37], v[34:35] offset0:96 offset1:112
	ds_write2_b64 v49, v[16:17], v[40:41] offset1:16
	ds_write2_b64 v49, v[50:51], v[38:39] offset0:32 offset1:48
	ds_write2_b64 v49, v[52:53], v[54:55] offset0:64 offset1:80
	ds_write2_b64 v49, v[42:43], v[58:59] offset0:96 offset1:112
	v_and_b32_e32 v49, 7, v96
	v_lshlrev_b32_e32 v16, 4, v49
	s_waitcnt lgkmcnt(0)
	; wave barrier
	s_waitcnt lgkmcnt(0)
	global_load_dwordx4 v[34:37], v16, s[12:13]
	v_and_b32_e32 v0, 48, v0
	global_load_dwordx4 v[38:41], v0, s[12:13]
	v_and_b32_e32 v0, 7, v68
	v_lshlrev_b32_e32 v16, 4, v0
	v_and_b32_e32 v69, 7, v95
	global_load_dwordx4 v[50:53], v16, s[12:13]
	v_lshlrev_b32_e32 v16, 4, v69
	global_load_dwordx4 v[54:57], v16, s[12:13]
	v_and_b32_e32 v80, 7, v67
	v_lshlrev_b32_e32 v16, 4, v80
	global_load_dwordx4 v[58:61], v16, s[12:13]
	ds_read2st64_b64 v[62:65], v46 offset0:9 offset1:10
	ds_read2st64_b64 v[70:73], v46 offset0:11 offset1:12
	s_movk_i32 s6, 0xf0
	v_lshlrev_b32_e32 v1, 1, v1
	v_and_or_b32 v1, v1, s6, v92
	v_lshlrev_b32_e32 v1, 7, v1
	v_cmp_gt_u64_e32 vcc, s[14:15], v[86:87]
	s_or_b64 s[0:1], s[0:1], vcc
	s_waitcnt vmcnt(4) lgkmcnt(1)
	v_mul_f64 v[42:43], v[62:63], v[36:37]
	v_mul_f64 v[16:17], v[26:27], v[36:37]
	v_fmac_f64_e32 v[42:43], v[26:27], v[34:35]
	v_fma_f64 v[34:35], v[62:63], v[34:35], -v[16:17]
	ds_read_b64 v[16:17], v46 offset:7680
	s_waitcnt vmcnt(3)
	v_mul_f64 v[36:37], v[64:65], v[40:41]
	v_mul_f64 v[26:27], v[28:29], v[40:41]
	v_fmac_f64_e32 v[36:37], v[28:29], v[38:39]
	v_fma_f64 v[62:63], v[64:65], v[38:39], -v[26:27]
	ds_read2st64_b64 v[26:29], v46 offset0:13 offset1:14
	s_waitcnt vmcnt(2) lgkmcnt(1)
	v_mul_f64 v[64:65], v[16:17], v[52:53]
	v_mul_f64 v[52:53], v[84:85], v[52:53]
	v_fmac_f64_e32 v[64:65], v[84:85], v[50:51]
	v_fma_f64 v[52:53], v[16:17], v[50:51], -v[52:53]
	s_waitcnt vmcnt(1)
	v_mul_f64 v[50:51], v[70:71], v[56:57]
	v_mul_f64 v[16:17], v[30:31], v[56:57]
	v_fmac_f64_e32 v[50:51], v[30:31], v[54:55]
	v_fma_f64 v[30:31], v[70:71], v[54:55], -v[16:17]
	v_mul_f64 v[54:55], v[72:73], v[40:41]
	v_mul_f64 v[16:17], v[32:33], v[40:41]
	v_fmac_f64_e32 v[54:55], v[32:33], v[38:39]
	v_fma_f64 v[32:33], v[72:73], v[38:39], -v[16:17]
	s_waitcnt vmcnt(0) lgkmcnt(0)
	v_mul_f64 v[56:57], v[26:27], v[60:61]
	v_mul_f64 v[16:17], v[18:19], v[60:61]
	v_fmac_f64_e32 v[56:57], v[18:19], v[58:59]
	v_fma_f64 v[26:27], v[26:27], v[58:59], -v[16:17]
	ds_read2st64_b64 v[16:19], v46 offset1:8
	v_mul_f64 v[58:59], v[28:29], v[40:41]
	v_fmac_f64_e32 v[58:59], v[20:21], v[38:39]
	v_mul_f64 v[20:21], v[20:21], v[40:41]
	v_fma_f64 v[28:29], v[28:29], v[38:39], -v[20:21]
	s_waitcnt lgkmcnt(0)
	v_mul_f64 v[20:21], v[18:19], v[40:41]
	v_fmac_f64_e32 v[20:21], v[24:25], v[38:39]
	v_mul_f64 v[24:25], v[24:25], v[40:41]
	v_add_f64 v[20:21], v[22:23], -v[20:21]
	v_lshlrev_b32_e32 v40, 7, v92
	v_fma_f64 v[22:23], v[22:23], 2.0, -v[20:21]
	v_add3_u32 v81, 0, v40, v88
	v_fma_f64 v[18:19], v[18:19], v[38:39], -v[24:25]
	ds_read_b64 v[24:25], v89
	ds_read_b64 v[38:39], v90
	;; [unrolled: 1-line block ×7, first 2 shown]
	s_waitcnt lgkmcnt(0)
	; wave barrier
	s_waitcnt lgkmcnt(0)
	ds_write2st64_b64 v81, v[22:23], v[20:21] offset1:2
	v_lshlrev_b32_e32 v20, 1, v96
	v_and_or_b32 v22, v20, s6, v49
	v_add_f64 v[20:21], v[14:15], -v[42:43]
	v_lshlrev_b32_e32 v22, 7, v22
	v_fma_f64 v[14:15], v[14:15], 2.0, -v[20:21]
	v_add3_u32 v49, 0, v22, v88
	ds_write2st64_b64 v49, v[14:15], v[20:21] offset1:2
	v_lshlrev_b32_e32 v20, 1, v94
	v_and_or_b32 v20, v20, s6, v92
	v_lshlrev_b32_e32 v20, 7, v20
	v_add3_u32 v82, 0, v20, v88
	v_add_f64 v[20:21], v[6:7], -v[64:65]
	v_add3_u32 v65, 0, v1, v88
	v_lshlrev_b32_e32 v1, 1, v67
	v_and_or_b32 v1, v1, s6, v80
	v_lshlrev_b32_e32 v1, 7, v1
	v_add3_u32 v67, 0, v1, v88
	v_lshlrev_b32_e32 v1, 1, v66
	v_and_or_b32 v1, v1, s6, v92
	v_lshlrev_b32_e32 v1, 7, v1
	v_add_f64 v[14:15], v[12:13], -v[36:37]
	v_lshlrev_b32_e32 v22, 1, v95
	v_add3_u32 v66, 0, v1, v88
	v_lshlrev_b32_e32 v1, 1, v68
	v_fma_f64 v[12:13], v[12:13], 2.0, -v[14:15]
	v_add_f64 v[36:37], v[16:17], -v[18:19]
	v_and_or_b32 v22, v22, s6, v69
	v_and_or_b32 v0, v1, s6, v0
	ds_write2st64_b64 v82, v[12:13], v[14:15] offset1:2
	v_fma_f64 v[78:79], v[16:17], 2.0, -v[36:37]
	v_add_f64 v[12:13], v[4:5], -v[50:51]
	v_add_f64 v[14:15], v[2:3], -v[54:55]
	;; [unrolled: 1-line block ×4, first 2 shown]
	v_lshlrev_b32_e32 v22, 7, v22
	v_lshlrev_b32_e32 v0, 7, v0
	v_fma_f64 v[4:5], v[4:5], 2.0, -v[12:13]
	v_fma_f64 v[2:3], v[2:3], 2.0, -v[14:15]
	;; [unrolled: 1-line block ×5, first 2 shown]
	v_add3_u32 v64, 0, v22, v88
	v_add3_u32 v68, 0, v0, v88
	ds_write2st64_b64 v64, v[4:5], v[12:13] offset1:2
	ds_write2st64_b64 v65, v[2:3], v[14:15] offset1:2
	;; [unrolled: 1-line block ×5, first 2 shown]
	s_waitcnt lgkmcnt(0)
	; wave barrier
	s_waitcnt lgkmcnt(0)
	ds_read2st64_b64 v[0:3], v46 offset1:5
	ds_read_b64 v[50:51], v44
	ds_read_b64 v[42:43], v45
	ds_read2st64_b64 v[4:7], v46 offset0:8 offset1:9
	ds_read2st64_b64 v[12:15], v46 offset0:6 offset1:7
	ds_read_b64 v[88:89], v48
	ds_read_b64 v[40:41], v47
	ds_read2st64_b64 v[8:11], v46 offset0:12 offset1:13
	ds_read2st64_b64 v[20:23], v46 offset0:10 offset1:11
	;; [unrolled: 1-line block ×3, first 2 shown]
	v_add_f64 v[34:35], v[70:71], -v[34:35]
	s_waitcnt lgkmcnt(0)
	; wave barrier
	s_waitcnt lgkmcnt(0)
	ds_write2st64_b64 v81, v[78:79], v[36:37] offset1:2
	v_fma_f64 v[36:37], v[70:71], 2.0, -v[34:35]
	ds_write2st64_b64 v49, v[36:37], v[34:35] offset1:2
	v_add_f64 v[34:35], v[72:73], -v[62:63]
	v_fma_f64 v[36:37], v[72:73], 2.0, -v[34:35]
	v_add_f64 v[30:31], v[74:75], -v[30:31]
	v_add_f64 v[32:33], v[76:77], -v[32:33]
	;; [unrolled: 1-line block ×5, first 2 shown]
	v_fma_f64 v[54:55], v[74:75], 2.0, -v[30:31]
	v_fma_f64 v[56:57], v[76:77], 2.0, -v[32:33]
	;; [unrolled: 1-line block ×5, first 2 shown]
	ds_write2st64_b64 v82, v[36:37], v[34:35] offset1:2
	ds_write2st64_b64 v64, v[54:55], v[30:31] offset1:2
	;; [unrolled: 1-line block ×6, first 2 shown]
	s_waitcnt lgkmcnt(0)
	; wave barrier
	s_waitcnt lgkmcnt(0)
	s_and_saveexec_b64 s[6:7], s[0:1]
	s_cbranch_execz .LBB0_19
; %bb.18:
	v_and_b32_e32 v87, 15, v95
	v_mul_u32_u24_e32 v24, 3, v87
	v_lshlrev_b32_e32 v24, 4, v24
	global_load_dwordx4 v[32:35], v24, s[12:13] offset:144
	global_load_dwordx4 v[36:39], v24, s[12:13] offset:128
	;; [unrolled: 1-line block ×3, first 2 shown]
	v_and_b32_e32 v99, 15, v94
	ds_read2st64_b64 v[24:27], v46 offset0:14 offset1:15
	ds_read_b64 v[90:91], v48
	ds_read_b64 v[48:49], v47
	;; [unrolled: 1-line block ×3, first 2 shown]
	v_mul_u32_u24_e32 v47, 3, v99
	v_lshlrev_b32_e32 v47, 4, v47
	ds_read2st64_b64 v[52:55], v46 offset0:6 offset1:7
	ds_read2st64_b64 v[66:69], v46 offset0:8 offset1:9
	ds_read2st64_b64 v[56:59], v46 offset0:10 offset1:11
	ds_read2st64_b64 v[62:65], v46 offset0:12 offset1:13
	global_load_dwordx4 v[70:73], v47, s[12:13] offset:160
	global_load_dwordx4 v[74:77], v47, s[12:13] offset:144
	;; [unrolled: 1-line block ×3, first 2 shown]
	v_or_b32_e32 v45, 48, v87
	v_lshlrev_b32_e32 v98, 4, v86
	v_mul_lo_u32 v45, v45, v86
	v_lshrrev_b32_e32 v60, 8, v45
	v_and_b32_e32 v61, 63, v45
	v_lshrrev_b32_e32 v82, 2, v45
	v_sub_u32_e32 v45, v45, v98
	s_add_i32 s0, 0, 0x2000
	v_and_b32_e32 v47, 0x3f0, v60
	v_lshl_add_u32 v60, v61, 4, 0
	v_and_b32_e32 v61, 0x3f0, v82
	v_lshrrev_b32_e32 v82, 8, v45
	v_and_b32_e32 v83, 63, v45
	v_lshrrev_b32_e32 v84, 2, v45
	v_add_u32_e32 v47, s0, v47
	v_add_u32_e32 v61, s0, v61
	v_and_b32_e32 v104, 0x3f0, v82
	v_lshl_add_u32 v112, v83, 4, 0
	v_and_b32_e32 v108, 0x3f0, v84
	ds_read_b128 v[82:85], v47 offset:2048
	ds_read_b128 v[100:103], v60 offset:8192
	v_add_u32_e32 v47, s0, v104
	ds_read_b128 v[104:107], v61 offset:1024
	v_add_u32_e32 v60, s0, v108
	ds_read_b128 v[108:111], v47 offset:2048
	ds_read_b128 v[112:115], v112 offset:8192
	;; [unrolled: 1-line block ×3, first 2 shown]
	v_sub_u32_e32 v45, v45, v98
	v_mul_lo_u32 v47, v87, v86
	s_waitcnt lgkmcnt(3)
	v_mul_f64 v[60:61], v[102:103], v[106:107]
	v_mul_f64 v[106:107], v[100:101], v[106:107]
	v_fma_f64 v[60:61], v[100:101], v[104:105], -v[60:61]
	v_fmac_f64_e32 v[106:107], v[102:103], v[104:105]
	s_waitcnt lgkmcnt(0)
	v_mul_f64 v[100:101], v[114:115], v[118:119]
	v_mul_f64 v[104:105], v[106:107], v[84:85]
	;; [unrolled: 1-line block ×4, first 2 shown]
	v_fma_f64 v[100:101], v[112:113], v[116:117], -v[100:101]
	v_fma_f64 v[60:61], v[82:83], v[60:61], -v[104:105]
	v_fmac_f64_e32 v[84:85], v[82:83], v[106:107]
	v_fmac_f64_e32 v[102:103], v[114:115], v[116:117]
	v_mul_f64 v[82:83], v[102:103], v[110:111]
	v_fma_f64 v[82:83], v[108:109], v[100:101], -v[82:83]
	s_waitcnt vmcnt(5)
	v_mul_f64 v[104:105], v[22:23], v[34:35]
	s_waitcnt vmcnt(4)
	v_mul_f64 v[106:107], v[54:55], v[38:39]
	;; [unrolled: 2-line block ×3, first 2 shown]
	v_mul_f64 v[34:35], v[58:59], v[34:35]
	v_mul_f64 v[38:39], v[14:15], v[38:39]
	;; [unrolled: 1-line block ×3, first 2 shown]
	v_fmac_f64_e32 v[106:107], v[14:15], v[36:37]
	v_fmac_f64_e32 v[112:113], v[18:19], v[28:29]
	;; [unrolled: 1-line block ×3, first 2 shown]
	v_fma_f64 v[14:15], v[54:55], v[36:37], -v[38:39]
	v_fma_f64 v[18:19], v[26:27], v[28:29], -v[30:31]
	;; [unrolled: 1-line block ×3, first 2 shown]
	v_add_f64 v[54:55], v[40:41], -v[34:35]
	v_add_f64 v[18:19], v[14:15], -v[18:19]
	;; [unrolled: 1-line block ×4, first 2 shown]
	v_add_f64 v[104:105], v[54:55], v[18:19]
	v_add_f64 v[34:35], v[22:23], -v[26:27]
	v_fma_f64 v[14:15], v[14:15], 2.0, -v[18:19]
	v_fma_f64 v[18:19], v[40:41], 2.0, -v[54:55]
	;; [unrolled: 1-line block ×3, first 2 shown]
	v_mul_f64 v[30:31], v[104:105], v[84:85]
	v_fma_f64 v[48:49], v[48:49], 2.0, -v[22:23]
	v_mul_f64 v[26:27], v[34:35], v[84:85]
	v_add_f64 v[106:107], v[18:19], -v[28:29]
	v_fma_f64 v[28:29], v[34:35], v[60:61], -v[30:31]
	v_fma_f64 v[22:23], v[22:23], 2.0, -v[34:35]
	v_lshrrev_b32_e32 v34, 8, v45
	v_and_b32_e32 v35, 63, v45
	v_lshrrev_b32_e32 v45, 2, v45
	v_and_b32_e32 v34, 0x3f0, v34
	v_and_b32_e32 v45, 0x3f0, v45
	v_add_u32_e32 v34, s0, v34
	v_lshl_add_u32 v38, v35, 4, 0
	v_add_u32_e32 v45, s0, v45
	v_fmac_f64_e32 v[26:27], v[104:105], v[60:61]
	ds_read_b128 v[34:37], v34 offset:2048
	ds_read_b128 v[38:41], v38 offset:8192
	;; [unrolled: 1-line block ×3, first 2 shown]
	v_mul_f64 v[30:31], v[100:101], v[110:111]
	v_lshrrev_b32_e32 v45, 8, v47
	v_add_f64 v[14:15], v[48:49], -v[14:15]
	v_fmac_f64_e32 v[30:31], v[108:109], v[102:103]
	s_waitcnt lgkmcnt(0)
	v_mul_f64 v[100:101], v[40:41], v[60:61]
	v_fma_f64 v[100:101], v[38:39], v[58:59], -v[100:101]
	v_mul_f64 v[38:39], v[38:39], v[60:61]
	v_fmac_f64_e32 v[38:39], v[40:41], v[58:59]
	v_mul_f64 v[40:41], v[38:39], v[36:37]
	v_and_b32_e32 v45, 0x3f0, v45
	v_fma_f64 v[102:103], v[34:35], v[100:101], -v[40:41]
	v_mul_f64 v[100:101], v[100:101], v[36:37]
	v_and_b32_e32 v36, 63, v47
	v_lshrrev_b32_e32 v37, 2, v47
	v_mul_f64 v[32:33], v[106:107], v[30:31]
	v_mul_f64 v[30:31], v[14:15], v[30:31]
	v_add_u32_e32 v45, s0, v45
	v_lshl_add_u32 v36, v36, 4, 0
	v_and_b32_e32 v37, 0x3f0, v37
	v_fma_f64 v[32:33], v[14:15], v[82:83], -v[32:33]
	v_fmac_f64_e32 v[30:31], v[106:107], v[82:83]
	ds_read_b128 v[82:85], v45 offset:2048
	v_fmac_f64_e32 v[100:101], v[34:35], v[38:39]
	v_add_u32_e32 v37, s0, v37
	ds_read_b128 v[38:41], v36 offset:8192
	ds_read_b128 v[58:61], v37 offset:1024
	v_fma_f64 v[54:55], v[54:55], 2.0, -v[104:105]
	v_mul_f64 v[34:35], v[54:55], v[100:101]
	v_fma_f64 v[36:37], v[22:23], v[102:103], -v[34:35]
	v_mul_f64 v[34:35], v[22:23], v[100:101]
	s_waitcnt lgkmcnt(0)
	v_mul_f64 v[22:23], v[40:41], v[60:61]
	v_fma_f64 v[22:23], v[38:39], v[58:59], -v[22:23]
	v_mul_f64 v[38:39], v[38:39], v[60:61]
	v_fmac_f64_e32 v[38:39], v[40:41], v[58:59]
	v_mul_f64 v[40:41], v[38:39], v[84:85]
	v_fma_f64 v[14:15], v[48:49], 2.0, -v[14:15]
	v_fma_f64 v[48:49], v[82:83], v[22:23], -v[40:41]
	v_mul_f64 v[22:23], v[22:23], v[84:85]
	v_fma_f64 v[18:19], v[18:19], 2.0, -v[106:107]
	v_fmac_f64_e32 v[22:23], v[82:83], v[38:39]
	v_mul_f64 v[38:39], v[18:19], v[22:23]
	v_fma_f64 v[40:41], v[14:15], v[48:49], -v[38:39]
	v_mul_f64 v[38:39], v[14:15], v[22:23]
	s_waitcnt vmcnt(1)
	v_mul_f64 v[14:15], v[20:21], v[76:77]
	v_fma_f64 v[14:15], v[56:57], v[74:75], -v[14:15]
	v_fmac_f64_e32 v[38:39], v[18:19], v[48:49]
	ds_read_b64 v[114:115], v44
	v_add_f64 v[44:45], v[120:121], -v[14:15]
	s_waitcnt vmcnt(0)
	v_mul_f64 v[48:49], v[52:53], v[80:81]
	v_mul_f64 v[14:15], v[24:25], v[72:73]
	v_fmac_f64_e32 v[48:49], v[12:13], v[78:79]
	v_fmac_f64_e32 v[14:15], v[16:17], v[70:71]
	v_add_f64 v[108:109], v[48:49], -v[14:15]
	v_or_b32_e32 v14, 48, v99
	v_mul_lo_u32 v14, v14, v86
	v_lshrrev_b32_e32 v15, 8, v14
	v_and_b32_e32 v15, 0x3f0, v15
	v_add_u32_e32 v15, s0, v15
	v_and_b32_e32 v18, 63, v14
	v_lshl_add_u32 v18, v18, 4, 0
	ds_read_b128 v[58:61], v15 offset:2048
	ds_read_b128 v[82:85], v18 offset:8192
	v_lshrrev_b32_e32 v15, 2, v14
	v_and_b32_e32 v15, 0x3f0, v15
	v_add_u32_e32 v15, s0, v15
	v_fmac_f64_e32 v[34:35], v[54:55], v[102:103]
	ds_read_b128 v[100:103], v15 offset:1024
	v_sub_u32_e32 v47, v14, v98
	v_lshrrev_b32_e32 v14, 8, v47
	v_and_b32_e32 v14, 0x3f0, v14
	v_add_u32_e32 v14, s0, v14
	ds_read_b128 v[104:107], v14 offset:2048
	s_waitcnt lgkmcnt(1)
	v_mul_f64 v[18:19], v[82:83], v[102:103]
	v_mul_f64 v[14:15], v[84:85], v[102:103]
	v_fmac_f64_e32 v[18:19], v[84:85], v[100:101]
	v_fma_f64 v[14:15], v[82:83], v[100:101], -v[14:15]
	v_mul_f64 v[22:23], v[18:19], v[60:61]
	v_mul_f64 v[12:13], v[12:13], v[80:81]
	v_and_b32_e32 v100, 15, v96
	v_fma_f64 v[84:85], v[58:59], v[14:15], -v[22:23]
	v_mul_f64 v[22:23], v[56:57], v[76:77]
	v_fma_f64 v[56:57], v[52:53], v[78:79], -v[12:13]
	v_mul_f64 v[12:13], v[16:17], v[72:73]
	v_mul_u32_u24_e32 v17, 3, v100
	v_lshlrev_b32_e32 v80, 4, v17
	v_lshrrev_b32_e32 v17, 2, v47
	v_fma_f64 v[12:13], v[24:25], v[70:71], -v[12:13]
	v_and_b32_e32 v16, 63, v47
	v_and_b32_e32 v17, 0x3f0, v17
	v_fmac_f64_e32 v[22:23], v[20:21], v[74:75]
	v_add_f64 v[24:25], v[56:57], -v[12:13]
	v_mul_f64 v[12:13], v[14:15], v[60:61]
	v_lshl_add_u32 v16, v16, 4, 0
	v_add_u32_e32 v20, s0, v17
	v_add_f64 v[74:75], v[42:43], -v[22:23]
	v_fmac_f64_e32 v[12:13], v[58:59], v[18:19]
	global_load_dwordx4 v[52:55], v80, s[12:13] offset:144
	ds_read_b128 v[16:19], v16 offset:8192
	ds_read_b128 v[20:23], v20 offset:1024
	v_add_f64 v[76:77], v[74:75], v[24:25]
	v_fma_f64 v[24:25], v[56:57], 2.0, -v[24:25]
	v_add_f64 v[82:83], v[44:45], -v[108:109]
	v_mul_f64 v[14:15], v[76:77], v[12:13]
	s_waitcnt lgkmcnt(0)
	v_mul_f64 v[56:57], v[18:19], v[22:23]
	v_fma_f64 v[56:57], v[16:17], v[20:21], -v[56:57]
	v_mul_f64 v[16:17], v[16:17], v[22:23]
	v_fmac_f64_e32 v[16:17], v[18:19], v[20:21]
	v_mul_f64 v[12:13], v[82:83], v[12:13]
	v_mul_f64 v[18:19], v[16:17], v[106:107]
	v_fma_f64 v[14:15], v[82:83], v[84:85], -v[14:15]
	v_fmac_f64_e32 v[12:13], v[76:77], v[84:85]
	v_fma_f64 v[20:21], v[104:105], v[56:57], -v[18:19]
	v_fma_f64 v[84:85], v[42:43], 2.0, -v[74:75]
	v_fma_f64 v[18:19], v[48:49], 2.0, -v[108:109]
	v_mul_f64 v[22:23], v[56:57], v[106:107]
	v_fma_f64 v[60:61], v[120:121], 2.0, -v[44:45]
	v_add_f64 v[48:49], v[84:85], -v[18:19]
	v_fmac_f64_e32 v[22:23], v[104:105], v[16:17]
	v_add_f64 v[24:25], v[60:61], -v[24:25]
	v_mul_f64 v[16:17], v[48:49], v[22:23]
	v_fma_f64 v[18:19], v[24:25], v[20:21], -v[16:17]
	v_mul_f64 v[16:17], v[24:25], v[22:23]
	v_sub_u32_e32 v47, v47, v98
	v_fmac_f64_e32 v[16:17], v[48:49], v[20:21]
	v_lshrrev_b32_e32 v20, 8, v47
	v_and_b32_e32 v21, 63, v47
	v_lshrrev_b32_e32 v47, 2, v47
	v_and_b32_e32 v20, 0x3f0, v20
	v_and_b32_e32 v47, 0x3f0, v47
	v_add_u32_e32 v20, s0, v20
	v_lshl_add_u32 v42, v21, 4, 0
	v_add_u32_e32 v47, s0, v47
	v_fma_f64 v[82:83], v[44:45], 2.0, -v[82:83]
	ds_read_b128 v[20:23], v20 offset:2048
	ds_read_b128 v[42:45], v42 offset:8192
	;; [unrolled: 1-line block ×3, first 2 shown]
	v_mul_lo_u32 v81, v99, v86
	v_fma_f64 v[104:105], v[74:75], 2.0, -v[76:77]
	v_lshrrev_b32_e32 v47, 8, v81
	v_and_b32_e32 v47, 0x3f0, v47
	s_waitcnt lgkmcnt(0)
	v_mul_f64 v[78:79], v[44:45], v[58:59]
	v_fma_f64 v[78:79], v[42:43], v[56:57], -v[78:79]
	v_mul_f64 v[42:43], v[42:43], v[58:59]
	v_fmac_f64_e32 v[42:43], v[44:45], v[56:57]
	v_mul_f64 v[106:107], v[78:79], v[22:23]
	v_mul_f64 v[44:45], v[42:43], v[22:23]
	v_fmac_f64_e32 v[106:107], v[20:21], v[42:43]
	v_fma_f64 v[102:103], v[20:21], v[78:79], -v[44:45]
	v_mul_f64 v[20:21], v[104:105], v[106:107]
	v_fma_f64 v[22:23], v[82:83], v[102:103], -v[20:21]
	v_and_b32_e32 v20, 63, v81
	v_lshrrev_b32_e32 v21, 2, v81
	v_add_u32_e32 v47, s0, v47
	v_lshl_add_u32 v20, v20, 4, 0
	v_and_b32_e32 v21, 0x3f0, v21
	ds_read_b128 v[70:73], v47 offset:2048
	global_load_dwordx4 v[56:59], v80, s[12:13] offset:128
	v_add_u32_e32 v21, s0, v21
	ds_read_b128 v[42:45], v20 offset:8192
	ds_read_b128 v[74:77], v21 offset:1024
	global_load_dwordx4 v[78:81], v80, s[12:13] offset:160
	v_fma_f64 v[24:25], v[60:61], 2.0, -v[24:25]
	v_fma_f64 v[48:49], v[84:85], 2.0, -v[48:49]
	v_mul_f64 v[20:21], v[82:83], v[106:107]
	s_waitcnt lgkmcnt(0)
	v_mul_f64 v[60:61], v[44:45], v[76:77]
	v_fma_f64 v[60:61], v[42:43], v[74:75], -v[60:61]
	v_mul_f64 v[42:43], v[42:43], v[76:77]
	v_fmac_f64_e32 v[42:43], v[44:45], v[74:75]
	v_mul_f64 v[44:45], v[42:43], v[72:73]
	v_fma_f64 v[74:75], v[70:71], v[60:61], -v[44:45]
	v_mul_f64 v[60:61], v[60:61], v[72:73]
	v_fmac_f64_e32 v[60:61], v[70:71], v[42:43]
	v_mul_f64 v[42:43], v[48:49], v[60:61]
	ds_read2st64_b64 v[70:73], v46 offset1:5
	v_or_b32_e32 v46, 48, v100
	v_fma_f64 v[44:45], v[24:25], v[74:75], -v[42:43]
	v_mul_f64 v[42:43], v[24:25], v[60:61]
	v_mul_lo_u32 v60, v46, v86
	v_lshrrev_b32_e32 v46, 8, v60
	v_and_b32_e32 v46, 0x3f0, v46
	v_and_b32_e32 v47, 63, v60
	v_add_u32_e32 v46, s0, v46
	v_lshl_add_u32 v61, v47, 4, 0
	v_sub_u32_e32 v101, v60, v98
	v_fmac_f64_e32 v[42:43], v[48:49], v[74:75]
	ds_read_b128 v[46:49], v46 offset:2048
	ds_read_b128 v[74:77], v61 offset:8192
	v_lshrrev_b32_e32 v61, 2, v60
	v_lshrrev_b32_e32 v60, 8, v101
	v_and_b32_e32 v61, 0x3f0, v61
	v_and_b32_e32 v60, 0x3f0, v60
	v_add_u32_e32 v61, s0, v61
	v_add_u32_e32 v60, s0, v60
	v_fmac_f64_e32 v[20:21], v[104:105], v[102:103]
	ds_read_b128 v[82:85], v61 offset:1024
	ds_read_b128 v[102:105], v60 offset:2048
	v_and_b32_e32 v60, 63, v101
	v_lshrrev_b32_e32 v61, 2, v101
	v_lshl_add_u32 v60, v60, 4, 0
	v_and_b32_e32 v61, 0x3f0, v61
	v_add_u32_e32 v61, s0, v61
	ds_read_b128 v[106:109], v60 offset:8192
	ds_read_b128 v[110:113], v61 offset:1024
	s_waitcnt vmcnt(2)
	v_mul_f64 v[24:25], v[6:7], v[54:55]
	v_mul_f64 v[54:55], v[68:69], v[54:55]
	v_fma_f64 v[24:25], v[68:69], v[52:53], -v[24:25]
	s_waitcnt lgkmcnt(3)
	v_mul_f64 v[60:61], v[76:77], v[84:85]
	v_mul_f64 v[116:117], v[74:75], v[84:85]
	v_sub_u32_e32 v101, v101, v98
	v_fmac_f64_e32 v[54:55], v[6:7], v[52:53]
	v_fma_f64 v[60:61], v[74:75], v[82:83], -v[60:61]
	v_fmac_f64_e32 v[116:117], v[76:77], v[82:83]
	s_waitcnt lgkmcnt(0)
	v_mul_f64 v[74:75], v[108:109], v[112:113]
	v_lshrrev_b32_e32 v82, 2, v101
	v_fma_f64 v[118:119], v[106:107], v[110:111], -v[74:75]
	v_and_b32_e32 v74, 63, v101
	v_and_b32_e32 v82, 0x3f0, v82
	v_lshl_add_u32 v74, v74, 4, 0
	v_add_u32_e32 v82, s0, v82
	ds_read_b128 v[74:77], v74 offset:8192
	ds_read_b128 v[82:85], v82 offset:1024
	v_add_f64 v[24:25], v[114:115], -v[24:25]
	v_mul_lo_u32 v122, v100, v86
	v_mul_f64 v[112:113], v[106:107], v[112:113]
	v_lshrrev_b32_e32 v106, 8, v122
	v_and_b32_e32 v106, 0x3f0, v106
	v_add_u32_e32 v106, s0, v106
	v_fmac_f64_e32 v[112:113], v[108:109], v[110:111]
	ds_read_b128 v[106:109], v106 offset:2048
	s_waitcnt vmcnt(1)
	v_mul_f64 v[6:7], v[72:73], v[58:59]
	v_fmac_f64_e32 v[6:7], v[2:3], v[56:57]
	v_mul_f64 v[2:3], v[2:3], v[58:59]
	s_waitcnt vmcnt(0)
	v_mul_f64 v[52:53], v[64:65], v[80:81]
	v_fmac_f64_e32 v[52:53], v[10:11], v[78:79]
	v_mul_f64 v[10:11], v[10:11], v[80:81]
	v_fma_f64 v[2:3], v[72:73], v[56:57], -v[2:3]
	v_fma_f64 v[10:11], v[64:65], v[78:79], -v[10:11]
	v_mul_f64 v[56:57], v[116:117], v[48:49]
	v_add_f64 v[64:65], v[50:51], -v[54:55]
	v_add_f64 v[10:11], v[2:3], -v[10:11]
	v_mul_f64 v[54:55], v[60:61], v[48:49]
	v_add_f64 v[52:53], v[6:7], -v[52:53]
	v_fma_f64 v[56:57], v[46:47], v[60:61], -v[56:57]
	v_fmac_f64_e32 v[54:55], v[46:47], v[116:117]
	v_add_f64 v[60:61], v[64:65], v[10:11]
	v_add_f64 v[58:59], v[24:25], -v[52:53]
	v_mul_f64 v[46:47], v[60:61], v[54:55]
	v_fma_f64 v[48:49], v[58:59], v[56:57], -v[46:47]
	v_mul_f64 v[46:47], v[58:59], v[54:55]
	v_lshrrev_b32_e32 v54, 8, v101
	v_and_b32_e32 v54, 0x3f0, v54
	v_add_u32_e32 v54, s0, v54
	v_fmac_f64_e32 v[46:47], v[60:61], v[56:57]
	ds_read_b128 v[54:57], v54 offset:2048
	s_waitcnt lgkmcnt(2)
	v_mul_f64 v[110:111], v[76:77], v[84:85]
	v_fma_f64 v[110:111], v[74:75], v[82:83], -v[110:111]
	v_mul_f64 v[120:121], v[74:75], v[84:85]
	v_mul_u32_u24_e32 v74, 3, v92
	v_lshlrev_b32_e32 v123, 4, v74
	v_fmac_f64_e32 v[120:121], v[76:77], v[82:83]
	global_load_dwordx4 v[74:77], v123, s[12:13] offset:144
	global_load_dwordx4 v[82:85], v123, s[12:13] offset:128
	;; [unrolled: 1-line block ×3, first 2 shown]
	v_fma_f64 v[2:3], v[2:3], 2.0, -v[10:11]
	v_fma_f64 v[10:11], v[114:115], 2.0, -v[24:25]
	;; [unrolled: 1-line block ×4, first 2 shown]
	v_mul_f64 v[50:51], v[118:119], v[104:105]
	v_add_f64 v[2:3], v[10:11], -v[2:3]
	v_mul_f64 v[52:53], v[112:113], v[104:105]
	v_add_f64 v[6:7], v[72:73], -v[6:7]
	v_fmac_f64_e32 v[50:51], v[102:103], v[112:113]
	v_fma_f64 v[68:69], v[102:103], v[118:119], -v[52:53]
	v_mul_f64 v[52:53], v[6:7], v[50:51]
	v_mul_f64 v[50:51], v[2:3], v[50:51]
	v_fma_f64 v[24:25], v[24:25], 2.0, -v[58:59]
	s_waitcnt lgkmcnt(0)
	v_mul_f64 v[58:59], v[120:121], v[56:57]
	v_fma_f64 v[52:53], v[2:3], v[68:69], -v[52:53]
	v_fmac_f64_e32 v[50:51], v[6:7], v[68:69]
	v_fma_f64 v[68:69], v[54:55], v[110:111], -v[58:59]
	v_mul_f64 v[110:111], v[110:111], v[56:57]
	v_and_b32_e32 v56, 63, v122
	v_lshrrev_b32_e32 v57, 2, v122
	v_lshl_add_u32 v56, v56, 4, 0
	v_and_b32_e32 v57, 0x3f0, v57
	v_fma_f64 v[64:65], v[64:65], 2.0, -v[60:61]
	v_add_u32_e32 v57, s0, v57
	ds_read_b128 v[58:61], v56 offset:8192
	ds_read_b128 v[102:105], v57 offset:1024
	v_fmac_f64_e32 v[110:111], v[54:55], v[120:121]
	v_mul_f64 v[54:55], v[64:65], v[110:111]
	v_fma_f64 v[56:57], v[24:25], v[68:69], -v[54:55]
	v_mul_f64 v[54:55], v[24:25], v[110:111]
	s_waitcnt lgkmcnt(0)
	v_mul_f64 v[24:25], v[58:59], v[104:105]
	v_fma_f64 v[2:3], v[10:11], 2.0, -v[2:3]
	v_mul_f64 v[10:11], v[60:61], v[104:105]
	v_fmac_f64_e32 v[24:25], v[60:61], v[102:103]
	v_fma_f64 v[10:11], v[58:59], v[102:103], -v[10:11]
	v_mul_f64 v[58:59], v[24:25], v[108:109]
	v_fmac_f64_e32 v[54:55], v[64:65], v[68:69]
	v_fma_f64 v[64:65], v[106:107], v[10:11], -v[58:59]
	v_mul_f64 v[10:11], v[10:11], v[108:109]
	v_fma_f64 v[6:7], v[72:73], 2.0, -v[6:7]
	v_fmac_f64_e32 v[10:11], v[106:107], v[24:25]
	v_mul_f64 v[24:25], v[6:7], v[10:11]
	v_fma_f64 v[60:61], v[2:3], v[64:65], -v[24:25]
	v_mul_f64 v[58:59], v[2:3], v[10:11]
	v_fmac_f64_e32 v[58:59], v[6:7], v[64:65]
	v_or_b32_e32 v101, 32, v92
	v_mul_lo_u32 v118, v101, v86
	s_waitcnt vmcnt(2)
	v_mul_f64 v[2:3], v[4:5], v[76:77]
	v_fma_f64 v[2:3], v[66:67], v[74:75], -v[2:3]
	v_add_f64 v[64:65], v[70:71], -v[2:3]
	v_mul_lo_u32 v2, v97, v86
	v_lshrrev_b32_e32 v3, 8, v2
	v_and_b32_e32 v6, 63, v2
	v_lshrrev_b32_e32 v2, 2, v2
	v_and_b32_e32 v3, 0x3f0, v3
	v_and_b32_e32 v2, 0x3f0, v2
	v_add_u32_e32 v3, s0, v3
	v_add_u32_e32 v2, s0, v2
	v_lshl_add_u32 v6, v6, 4, 0
	ds_read_b128 v[102:105], v3 offset:2048
	ds_read_b128 v[106:109], v6 offset:8192
	;; [unrolled: 1-line block ×3, first 2 shown]
	v_lshrrev_b32_e32 v2, 8, v118
	v_and_b32_e32 v2, 0x3f0, v2
	v_add_u32_e32 v2, s0, v2
	s_waitcnt vmcnt(1)
	v_mul_f64 v[10:11], v[90:91], v[84:85]
	s_waitcnt lgkmcnt(0)
	v_mul_f64 v[6:7], v[106:107], v[112:113]
	s_waitcnt vmcnt(0)
	v_mul_f64 v[24:25], v[62:63], v[80:81]
	ds_read_b128 v[114:117], v2 offset:2048
	v_mul_f64 v[2:3], v[108:109], v[112:113]
	v_fmac_f64_e32 v[6:7], v[108:109], v[110:111]
	v_fmac_f64_e32 v[10:11], v[88:89], v[82:83]
	;; [unrolled: 1-line block ×3, first 2 shown]
	v_fma_f64 v[2:3], v[106:107], v[110:111], -v[2:3]
	v_add_f64 v[72:73], v[10:11], -v[24:25]
	v_mul_f64 v[24:25], v[6:7], v[104:105]
	v_fma_f64 v[24:25], v[102:103], v[2:3], -v[24:25]
	v_mul_f64 v[2:3], v[2:3], v[104:105]
	v_mul_f64 v[66:67], v[66:67], v[76:77]
	v_fmac_f64_e32 v[2:3], v[102:103], v[6:7]
	v_lshrrev_b32_e32 v7, 2, v118
	v_fmac_f64_e32 v[66:67], v[4:5], v[74:75]
	v_mul_f64 v[4:5], v[88:89], v[84:85]
	v_and_b32_e32 v6, 63, v118
	v_and_b32_e32 v7, 0x3f0, v7
	v_add_f64 v[76:77], v[0:1], -v[66:67]
	v_fma_f64 v[74:75], v[90:91], v[82:83], -v[4:5]
	v_mul_f64 v[4:5], v[8:9], v[80:81]
	v_lshl_add_u32 v6, v6, 4, 0
	v_add_u32_e32 v66, s0, v7
	v_fma_f64 v[4:5], v[62:63], v[78:79], -v[4:5]
	ds_read_b128 v[6:9], v6 offset:8192
	ds_read_b128 v[66:69], v66 offset:1024
	v_add_f64 v[62:63], v[74:75], -v[4:5]
	v_add_f64 v[106:107], v[64:65], -v[72:73]
	v_add_f64 v[88:89], v[76:77], v[62:63]
	v_mul_f64 v[4:5], v[88:89], v[2:3]
	v_mul_f64 v[2:3], v[106:107], v[2:3]
	v_fma_f64 v[4:5], v[106:107], v[24:25], -v[4:5]
	v_fmac_f64_e32 v[2:3], v[88:89], v[24:25]
	v_fma_f64 v[24:25], v[70:71], 2.0, -v[64:65]
	v_fma_f64 v[62:63], v[74:75], 2.0, -v[62:63]
	v_add_f64 v[70:71], v[24:25], -v[62:63]
	s_waitcnt lgkmcnt(0)
	v_mul_f64 v[62:63], v[8:9], v[68:69]
	v_fma_f64 v[62:63], v[6:7], v[66:67], -v[62:63]
	v_mul_f64 v[6:7], v[6:7], v[68:69]
	v_fmac_f64_e32 v[6:7], v[8:9], v[66:67]
	v_mul_f64 v[8:9], v[6:7], v[116:117]
	v_fma_f64 v[66:67], v[114:115], v[62:63], -v[8:9]
	v_fma_f64 v[0:1], v[0:1], 2.0, -v[76:77]
	v_fma_f64 v[8:9], v[10:11], 2.0, -v[72:73]
	v_mul_f64 v[62:63], v[62:63], v[116:117]
	v_add_f64 v[10:11], v[0:1], -v[8:9]
	v_fmac_f64_e32 v[62:63], v[114:115], v[6:7]
	v_mul_f64 v[6:7], v[10:11], v[62:63]
	v_fma_f64 v[8:9], v[70:71], v[66:67], -v[6:7]
	v_mul_f64 v[6:7], v[70:71], v[62:63]
	v_sub_u32_e32 v62, v118, v98
	v_fmac_f64_e32 v[6:7], v[10:11], v[66:67]
	v_fma_f64 v[66:67], v[64:65], 2.0, -v[106:107]
	v_lshrrev_b32_e32 v63, 8, v62
	v_and_b32_e32 v64, 63, v62
	v_lshrrev_b32_e32 v62, 2, v62
	v_and_b32_e32 v63, 0x3f0, v63
	v_and_b32_e32 v62, 0x3f0, v62
	v_add_u32_e32 v63, s0, v63
	v_add_u32_e32 v62, s0, v62
	v_lshl_add_u32 v64, v64, 4, 0
	ds_read_b128 v[78:81], v63 offset:2048
	ds_read_b128 v[72:75], v64 offset:8192
	;; [unrolled: 1-line block ×3, first 2 shown]
	v_mul_lo_u32 v86, v92, v86
	v_lshrrev_b32_e32 v62, 8, v86
	v_and_b32_e32 v62, 0x3f0, v62
	v_add_u32_e32 v62, s0, v62
	s_waitcnt lgkmcnt(0)
	v_mul_f64 v[68:69], v[74:75], v[84:85]
	v_mul_f64 v[84:85], v[72:73], v[84:85]
	v_fma_f64 v[68:69], v[72:73], v[82:83], -v[68:69]
	v_fmac_f64_e32 v[84:85], v[74:75], v[82:83]
	v_mul_f64 v[72:73], v[84:85], v[80:81]
	v_fma_f64 v[74:75], v[76:77], 2.0, -v[88:89]
	v_mul_f64 v[76:77], v[68:69], v[80:81]
	v_fma_f64 v[72:73], v[78:79], v[68:69], -v[72:73]
	v_fmac_f64_e32 v[76:77], v[78:79], v[84:85]
	v_lshrrev_b32_e32 v79, 2, v86
	v_and_b32_e32 v78, 63, v86
	v_and_b32_e32 v79, 0x3f0, v79
	v_lshl_add_u32 v78, v78, 4, 0
	v_add_u32_e32 v82, s0, v79
	ds_read_b128 v[62:65], v62 offset:2048
	ds_read_b128 v[78:81], v78 offset:8192
	;; [unrolled: 1-line block ×3, first 2 shown]
	v_mul_f64 v[68:69], v[74:75], v[76:77]
	v_fma_f64 v[68:69], v[66:67], v[72:73], -v[68:69]
	v_mul_f64 v[66:67], v[66:67], v[76:77]
	v_fma_f64 v[24:25], v[24:25], 2.0, -v[70:71]
	s_waitcnt lgkmcnt(0)
	v_mul_f64 v[70:71], v[80:81], v[84:85]
	v_fmac_f64_e32 v[66:67], v[74:75], v[72:73]
	v_fma_f64 v[74:75], v[78:79], v[82:83], -v[70:71]
	v_mul_f64 v[72:73], v[78:79], v[84:85]
	v_fmac_f64_e32 v[72:73], v[80:81], v[82:83]
	v_fma_f64 v[0:1], v[0:1], 2.0, -v[10:11]
	v_mul_f64 v[10:11], v[74:75], v[64:65]
	v_mul_f64 v[70:71], v[72:73], v[64:65]
	v_fmac_f64_e32 v[10:11], v[62:63], v[72:73]
	v_fma_f64 v[70:71], v[62:63], v[74:75], -v[70:71]
	v_mul_f64 v[62:63], v[0:1], v[10:11]
	v_fma_f64 v[64:65], v[24:25], v[70:71], -v[62:63]
	v_mul_f64 v[62:63], v[24:25], v[10:11]
	v_fmac_f64_e32 v[62:63], v[0:1], v[70:71]
	v_mad_u64_u32 v[0:1], s[0:1], s10, v93, 0
	v_mov_b32_e32 v10, v1
	v_mad_u64_u32 v[10:11], s[0:1], s11, v93, v[10:11]
	v_mov_b32_e32 v1, v10
	;; [unrolled: 2-line block ×3, first 2 shown]
	v_mad_u64_u32 v[24:25], s[0:1], s5, v92, v[24:25]
	s_lshl_b64 s[0:1], s[2:3], 4
	s_add_u32 s0, s8, s0
	s_addc_u32 s1, s9, s1
	v_mov_b32_e32 v11, v24
	v_lshl_add_u64 v[0:1], v[0:1], 4, s[0:1]
	v_lshl_add_u64 v[10:11], v[10:11], 4, v[0:1]
	v_or_b32_e32 v25, 16, v92
	global_store_dwordx4 v[10:11], v[62:65], off
	v_mad_u64_u32 v[10:11], s[0:1], s4, v25, 0
	v_mov_b32_e32 v24, v11
	v_mad_u64_u32 v[24:25], s[0:1], s5, v25, v[24:25]
	v_mov_b32_e32 v11, v24
	v_lshl_add_u64 v[10:11], v[10:11], 4, v[0:1]
	global_store_dwordx4 v[10:11], v[66:69], off
	v_mad_u64_u32 v[10:11], s[0:1], s4, v101, 0
	v_mov_b32_e32 v24, v11
	v_mad_u64_u32 v[24:25], s[0:1], s5, v101, v[24:25]
	v_mov_b32_e32 v11, v24
	v_lshl_add_u64 v[10:11], v[10:11], 4, v[0:1]
	global_store_dwordx4 v[10:11], v[6:9], off
	s_movk_i32 s2, 0x1c0
	s_nop 0
	v_mad_u64_u32 v[6:7], s[0:1], s4, v97, 0
	v_mov_b32_e32 v8, v7
	v_mad_u64_u32 v[8:9], s[0:1], s5, v97, v[8:9]
	v_mov_b32_e32 v7, v8
	v_lshl_add_u64 v[6:7], v[6:7], 4, v[0:1]
	global_store_dwordx4 v[6:7], v[2:5], off
	s_nop 1
	v_lshlrev_b32_e32 v2, 2, v96
	v_and_or_b32 v6, v2, s2, v100
	v_mad_u64_u32 v[2:3], s[0:1], s4, v6, 0
	v_mov_b32_e32 v4, v3
	v_mad_u64_u32 v[4:5], s[0:1], s5, v6, v[4:5]
	v_mov_b32_e32 v3, v4
	v_lshl_add_u64 v[2:3], v[2:3], 4, v[0:1]
	v_or_b32_e32 v5, 16, v6
	global_store_dwordx4 v[2:3], v[58:61], off
	v_mad_u64_u32 v[2:3], s[0:1], s4, v5, 0
	v_mov_b32_e32 v4, v3
	v_mad_u64_u32 v[4:5], s[0:1], s5, v5, v[4:5]
	v_mov_b32_e32 v3, v4
	v_lshl_add_u64 v[2:3], v[2:3], 4, v[0:1]
	v_or_b32_e32 v5, 32, v6
	global_store_dwordx4 v[2:3], v[54:57], off
	v_mad_u64_u32 v[2:3], s[0:1], s4, v5, 0
	v_mov_b32_e32 v4, v3
	v_mad_u64_u32 v[4:5], s[0:1], s5, v5, v[4:5]
	v_mov_b32_e32 v3, v4
	v_lshl_add_u64 v[2:3], v[2:3], 4, v[0:1]
	v_or_b32_e32 v5, 48, v6
	global_store_dwordx4 v[2:3], v[50:53], off
	v_mad_u64_u32 v[2:3], s[0:1], s4, v5, 0
	v_mov_b32_e32 v4, v3
	v_mad_u64_u32 v[4:5], s[0:1], s5, v5, v[4:5]
	v_mov_b32_e32 v3, v4
	v_lshl_add_u64 v[2:3], v[2:3], 4, v[0:1]
	global_store_dwordx4 v[2:3], v[46:49], off
	v_lshlrev_b32_e32 v2, 2, v94
	v_and_or_b32 v6, v2, s2, v99
	v_mad_u64_u32 v[2:3], s[0:1], s4, v6, 0
	v_mov_b32_e32 v4, v3
	v_mad_u64_u32 v[4:5], s[0:1], s5, v6, v[4:5]
	v_mov_b32_e32 v3, v4
	v_lshl_add_u64 v[2:3], v[2:3], 4, v[0:1]
	v_or_b32_e32 v5, 16, v6
	global_store_dwordx4 v[2:3], v[42:45], off
	v_mad_u64_u32 v[2:3], s[0:1], s4, v5, 0
	v_mov_b32_e32 v4, v3
	v_mad_u64_u32 v[4:5], s[0:1], s5, v5, v[4:5]
	v_mov_b32_e32 v3, v4
	v_lshl_add_u64 v[2:3], v[2:3], 4, v[0:1]
	v_or_b32_e32 v5, 32, v6
	global_store_dwordx4 v[2:3], v[20:23], off
	v_mad_u64_u32 v[2:3], s[0:1], s4, v5, 0
	v_mov_b32_e32 v4, v3
	v_mad_u64_u32 v[4:5], s[0:1], s5, v5, v[4:5]
	v_mov_b32_e32 v3, v4
	v_lshl_add_u64 v[2:3], v[2:3], 4, v[0:1]
	v_or_b32_e32 v5, 48, v6
	global_store_dwordx4 v[2:3], v[16:19], off
	v_mad_u64_u32 v[2:3], s[0:1], s4, v5, 0
	v_mov_b32_e32 v4, v3
	v_mad_u64_u32 v[4:5], s[0:1], s5, v5, v[4:5]
	v_mov_b32_e32 v3, v4
	v_lshl_add_u64 v[2:3], v[2:3], 4, v[0:1]
	global_store_dwordx4 v[2:3], v[12:15], off
	;; [unrolled: 29-line block ×3, first 2 shown]
.LBB0_19:
	s_endpgm
	.section	.rodata,"a",@progbits
	.p2align	6, 0x0
	.amdhsa_kernel fft_rtc_back_len64_factors_8_2_4_wgs_64_tpt_4_halfLds_dim3_dp_ip_CI_sbcc_twdbase6_3step_dirReg
		.amdhsa_group_segment_fixed_size 0
		.amdhsa_private_segment_fixed_size 0
		.amdhsa_kernarg_size 88
		.amdhsa_user_sgpr_count 2
		.amdhsa_user_sgpr_dispatch_ptr 0
		.amdhsa_user_sgpr_queue_ptr 0
		.amdhsa_user_sgpr_kernarg_segment_ptr 1
		.amdhsa_user_sgpr_dispatch_id 0
		.amdhsa_user_sgpr_kernarg_preload_length 0
		.amdhsa_user_sgpr_kernarg_preload_offset 0
		.amdhsa_user_sgpr_private_segment_size 0
		.amdhsa_uses_dynamic_stack 0
		.amdhsa_enable_private_segment 0
		.amdhsa_system_sgpr_workgroup_id_x 1
		.amdhsa_system_sgpr_workgroup_id_y 0
		.amdhsa_system_sgpr_workgroup_id_z 0
		.amdhsa_system_sgpr_workgroup_info 0
		.amdhsa_system_vgpr_workitem_id 0
		.amdhsa_next_free_vgpr 124
		.amdhsa_next_free_sgpr 26
		.amdhsa_accum_offset 124
		.amdhsa_reserve_vcc 1
		.amdhsa_float_round_mode_32 0
		.amdhsa_float_round_mode_16_64 0
		.amdhsa_float_denorm_mode_32 3
		.amdhsa_float_denorm_mode_16_64 3
		.amdhsa_dx10_clamp 1
		.amdhsa_ieee_mode 1
		.amdhsa_fp16_overflow 0
		.amdhsa_tg_split 0
		.amdhsa_exception_fp_ieee_invalid_op 0
		.amdhsa_exception_fp_denorm_src 0
		.amdhsa_exception_fp_ieee_div_zero 0
		.amdhsa_exception_fp_ieee_overflow 0
		.amdhsa_exception_fp_ieee_underflow 0
		.amdhsa_exception_fp_ieee_inexact 0
		.amdhsa_exception_int_div_zero 0
	.end_amdhsa_kernel
	.text
.Lfunc_end0:
	.size	fft_rtc_back_len64_factors_8_2_4_wgs_64_tpt_4_halfLds_dim3_dp_ip_CI_sbcc_twdbase6_3step_dirReg, .Lfunc_end0-fft_rtc_back_len64_factors_8_2_4_wgs_64_tpt_4_halfLds_dim3_dp_ip_CI_sbcc_twdbase6_3step_dirReg
                                        ; -- End function
	.section	.AMDGPU.csdata,"",@progbits
; Kernel info:
; codeLenInByte = 9184
; NumSgprs: 32
; NumVgprs: 124
; NumAgprs: 0
; TotalNumVgprs: 124
; ScratchSize: 0
; MemoryBound: 1
; FloatMode: 240
; IeeeMode: 1
; LDSByteSize: 0 bytes/workgroup (compile time only)
; SGPRBlocks: 3
; VGPRBlocks: 15
; NumSGPRsForWavesPerEU: 32
; NumVGPRsForWavesPerEU: 124
; AccumOffset: 124
; Occupancy: 4
; WaveLimiterHint : 1
; COMPUTE_PGM_RSRC2:SCRATCH_EN: 0
; COMPUTE_PGM_RSRC2:USER_SGPR: 2
; COMPUTE_PGM_RSRC2:TRAP_HANDLER: 0
; COMPUTE_PGM_RSRC2:TGID_X_EN: 1
; COMPUTE_PGM_RSRC2:TGID_Y_EN: 0
; COMPUTE_PGM_RSRC2:TGID_Z_EN: 0
; COMPUTE_PGM_RSRC2:TIDIG_COMP_CNT: 0
; COMPUTE_PGM_RSRC3_GFX90A:ACCUM_OFFSET: 30
; COMPUTE_PGM_RSRC3_GFX90A:TG_SPLIT: 0
	.text
	.p2alignl 6, 3212836864
	.fill 256, 4, 3212836864
	.type	__hip_cuid_a50dd2e2e4a0188b,@object ; @__hip_cuid_a50dd2e2e4a0188b
	.section	.bss,"aw",@nobits
	.globl	__hip_cuid_a50dd2e2e4a0188b
__hip_cuid_a50dd2e2e4a0188b:
	.byte	0                               ; 0x0
	.size	__hip_cuid_a50dd2e2e4a0188b, 1

	.ident	"AMD clang version 19.0.0git (https://github.com/RadeonOpenCompute/llvm-project roc-6.4.0 25133 c7fe45cf4b819c5991fe208aaa96edf142730f1d)"
	.section	".note.GNU-stack","",@progbits
	.addrsig
	.addrsig_sym __hip_cuid_a50dd2e2e4a0188b
	.amdgpu_metadata
---
amdhsa.kernels:
  - .agpr_count:     0
    .args:
      - .actual_access:  read_only
        .address_space:  global
        .offset:         0
        .size:           8
        .value_kind:     global_buffer
      - .address_space:  global
        .offset:         8
        .size:           8
        .value_kind:     global_buffer
      - .actual_access:  read_only
        .address_space:  global
        .offset:         16
        .size:           8
        .value_kind:     global_buffer
      - .actual_access:  read_only
        .address_space:  global
        .offset:         24
        .size:           8
        .value_kind:     global_buffer
      - .offset:         32
        .size:           8
        .value_kind:     by_value
      - .actual_access:  read_only
        .address_space:  global
        .offset:         40
        .size:           8
        .value_kind:     global_buffer
      - .actual_access:  read_only
        .address_space:  global
        .offset:         48
        .size:           8
        .value_kind:     global_buffer
      - .offset:         56
        .size:           4
        .value_kind:     by_value
      - .actual_access:  read_only
        .address_space:  global
        .offset:         64
        .size:           8
        .value_kind:     global_buffer
      - .actual_access:  read_only
        .address_space:  global
        .offset:         72
        .size:           8
        .value_kind:     global_buffer
      - .address_space:  global
        .offset:         80
        .size:           8
        .value_kind:     global_buffer
    .group_segment_fixed_size: 0
    .kernarg_segment_align: 8
    .kernarg_segment_size: 88
    .language:       OpenCL C
    .language_version:
      - 2
      - 0
    .max_flat_workgroup_size: 64
    .name:           fft_rtc_back_len64_factors_8_2_4_wgs_64_tpt_4_halfLds_dim3_dp_ip_CI_sbcc_twdbase6_3step_dirReg
    .private_segment_fixed_size: 0
    .sgpr_count:     32
    .sgpr_spill_count: 0
    .symbol:         fft_rtc_back_len64_factors_8_2_4_wgs_64_tpt_4_halfLds_dim3_dp_ip_CI_sbcc_twdbase6_3step_dirReg.kd
    .uniform_work_group_size: 1
    .uses_dynamic_stack: false
    .vgpr_count:     124
    .vgpr_spill_count: 0
    .wavefront_size: 64
amdhsa.target:   amdgcn-amd-amdhsa--gfx950
amdhsa.version:
  - 1
  - 2
...

	.end_amdgpu_metadata
